;; amdgpu-corpus repo=ROCm/rocFFT kind=compiled arch=gfx950 opt=O3
	.text
	.amdgcn_target "amdgcn-amd-amdhsa--gfx950"
	.amdhsa_code_object_version 6
	.protected	fft_rtc_fwd_len42_factors_2_3_7_wgs_63_tpt_7_dim2_sp_ip_CI_unitstride_sbrr_dirReg ; -- Begin function fft_rtc_fwd_len42_factors_2_3_7_wgs_63_tpt_7_dim2_sp_ip_CI_unitstride_sbrr_dirReg
	.globl	fft_rtc_fwd_len42_factors_2_3_7_wgs_63_tpt_7_dim2_sp_ip_CI_unitstride_sbrr_dirReg
	.p2align	8
	.type	fft_rtc_fwd_len42_factors_2_3_7_wgs_63_tpt_7_dim2_sp_ip_CI_unitstride_sbrr_dirReg,@function
fft_rtc_fwd_len42_factors_2_3_7_wgs_63_tpt_7_dim2_sp_ip_CI_unitstride_sbrr_dirReg: ; @fft_rtc_fwd_len42_factors_2_3_7_wgs_63_tpt_7_dim2_sp_ip_CI_unitstride_sbrr_dirReg
; %bb.0:
	s_load_dwordx2 s[8:9], s[0:1], 0x48
	s_load_dwordx4 s[4:7], s[0:1], 0x0
	s_load_dwordx2 s[10:11], s[0:1], 0x10
	v_mul_u32_u24_e32 v1, 0x2493, v0
	v_lshrrev_b32_e32 v2, 16, v1
	v_mad_u64_u32 v[4:5], s[2:3], s2, 9, v[2:3]
	s_waitcnt lgkmcnt(0)
	s_load_dwordx2 s[6:7], s[6:7], 0x8
	v_mov_b32_e32 v5, 0
	s_load_dwordx2 s[2:3], s[10:11], 0x8
	v_mov_b64_e32 v[2:3], 0
	s_movk_i32 s14, 0x2493
	s_waitcnt lgkmcnt(0)
	v_cmp_le_u64_e32 vcc, s[6:7], v[4:5]
	v_mov_b64_e32 v[6:7], v[2:3]
	s_and_saveexec_b64 s[12:13], vcc
	s_cbranch_execz .LBB0_2
; %bb.1:
	v_cvt_f32_u32_e32 v1, s6
	s_sub_i32 s15, 0, s6
	v_rcp_iflag_f32_e32 v1, v1
	s_nop 0
	v_mul_f32_e32 v1, 0x4f7ffffe, v1
	v_cvt_u32_f32_e32 v1, v1
	v_mul_lo_u32 v6, s15, v1
	v_mul_hi_u32 v6, v1, v6
	v_add_u32_e32 v1, v1, v6
	v_mul_hi_u32 v1, v4, v1
	v_mul_lo_u32 v6, v1, s6
	v_sub_u32_e32 v6, v4, v6
	v_add_u32_e32 v7, 1, v1
	v_subrev_u32_e32 v8, s6, v6
	v_cmp_le_u32_e32 vcc, s6, v6
	s_nop 1
	v_cndmask_b32_e32 v6, v6, v8, vcc
	v_cndmask_b32_e32 v1, v1, v7, vcc
	v_add_u32_e32 v7, 1, v1
	v_cmp_le_u32_e32 vcc, s6, v6
	s_nop 1
	v_cndmask_b32_e32 v6, v1, v7, vcc
	v_mov_b32_e32 v7, v5
.LBB0_2:
	s_or_b64 exec, exec, s[12:13]
	v_mad_u64_u32 v[8:9], s[12:13], v6, s6, 0
	v_mov_b32_e32 v10, v9
	v_mad_u64_u32 v[10:11], s[6:7], v6, s7, v[10:11]
	s_load_dwordx2 s[6:7], s[10:11], 0x10
	v_mov_b32_e32 v1, v10
	v_sub_co_u32_e32 v5, vcc, v4, v8
	v_mul_lo_u32 v10, s3, v5
	s_nop 0
	v_subb_co_u32_e32 v1, vcc, 0, v1, vcc
	v_mul_lo_u32 v1, s2, v1
	v_mad_u64_u32 v[8:9], s[2:3], s2, v5, 0
	s_load_dwordx2 s[0:1], s[0:1], 0x18
	v_add3_u32 v9, v9, v1, v10
	s_waitcnt lgkmcnt(0)
	v_mad_u64_u32 v[8:9], s[2:3], s6, v6, v[8:9]
	v_mov_b32_e32 v10, v9
	v_mul_u32_u24_sdwa v1, v0, s14 dst_sel:DWORD dst_unused:UNUSED_PAD src0_sel:WORD_0 src1_sel:DWORD
	v_mov_b32_e32 v5, 7
	v_mad_u64_u32 v[10:11], s[2:3], s7, v6, v[10:11]
	v_mul_lo_u16_sdwa v1, v1, v5 dst_sel:DWORD dst_unused:UNUSED_PAD src0_sel:WORD_1 src1_sel:DWORD
	v_mov_b32_e32 v9, v10
	v_sub_u16_e32 v22, v0, v1
	v_cmp_gt_u64_e32 vcc, s[0:1], v[6:7]
	v_lshl_add_u64 v[12:13], v[8:9], 3, s[8:9]
	v_lshlrev_b32_e32 v14, 3, v22
	v_mov_b64_e32 v[6:7], v[2:3]
	v_mov_b64_e32 v[0:1], v[2:3]
                                        ; implicit-def: $vgpr16
                                        ; implicit-def: $vgpr10
                                        ; implicit-def: $vgpr8
	s_and_saveexec_b64 s[0:1], vcc
	s_cbranch_execz .LBB0_4
; %bb.3:
	v_mov_b32_e32 v15, 0
	v_lshl_add_u64 v[18:19], v[12:13], 0, v[14:15]
	global_load_dwordx2 v[2:3], v[18:19], off
	global_load_dwordx2 v[6:7], v[18:19], off offset:56
	global_load_dwordx2 v[16:17], v[18:19], off offset:168
	;; [unrolled: 1-line block ×5, first 2 shown]
.LBB0_4:
	s_or_b64 exec, exec, s[0:1]
	s_mov_b32 s0, 0x38e38e39
	v_mul_hi_u32 v5, v4, s0
	v_lshrrev_b32_e32 v5, 1, v5
	v_lshl_add_u32 v5, v5, 3, v5
	v_sub_u32_e32 v4, v4, v5
	v_mul_u32_u24_e32 v4, 42, v4
	v_lshl_add_u32 v18, v4, 3, 0
	s_waitcnt vmcnt(3)
	v_pk_add_f32 v[4:5], v[2:3], v[16:17] neg_lo:[0,1] neg_hi:[0,1]
	v_lshl_add_u32 v19, v22, 4, v18
	v_pk_fma_f32 v[2:3], v[2:3], 2.0, v[4:5] op_sel_hi:[1,0,1] neg_lo:[0,0,1] neg_hi:[0,0,1]
	ds_write2_b64 v19, v[2:3], v[4:5] offset1:1
	v_add_u32_e32 v15, 7, v22
	s_waitcnt vmcnt(1)
	v_pk_add_f32 v[2:3], v[6:7], v[10:11] neg_lo:[0,1] neg_hi:[0,1]
	v_lshl_add_u32 v16, v15, 4, v18
	v_pk_fma_f32 v[4:5], v[6:7], 2.0, v[2:3] op_sel_hi:[1,0,1] neg_lo:[0,0,1] neg_hi:[0,0,1]
	ds_write2_b64 v16, v[4:5], v[2:3] offset1:1
	s_waitcnt vmcnt(0)
	v_pk_add_f32 v[2:3], v[0:1], v[8:9] neg_lo:[0,1] neg_hi:[0,1]
	v_and_b32_e32 v4, 1, v15
	v_pk_fma_f32 v[0:1], v[0:1], 2.0, v[2:3] op_sel_hi:[1,0,1] neg_lo:[0,0,1] neg_hi:[0,0,1]
	v_and_b32_e32 v5, 1, v22
	ds_write2_b64 v19, v[0:1], v[2:3] offset0:28 offset1:29
	v_lshlrev_b32_e32 v0, 4, v4
	v_lshlrev_b32_e32 v6, 4, v5
	s_waitcnt lgkmcnt(0)
	; wave barrier
	s_waitcnt lgkmcnt(0)
	global_load_dwordx4 v[0:3], v0, s[4:5]
	v_lshrrev_b32_e32 v7, 1, v15
	global_load_dwordx4 v[8:11], v6, s[4:5]
	v_lshrrev_b32_e32 v6, 1, v22
	v_mul_u32_u24_e32 v6, 6, v6
	v_or_b32_e32 v5, v6, v5
	v_mul_u32_u24_e32 v6, 6, v7
	v_or_b32_e32 v4, v6, v4
	v_sub_u32_e32 v7, v19, v14
	v_add_u32_e32 v15, v18, v14
	v_lshl_add_u32 v6, v5, 3, v18
	v_lshl_add_u32 v23, v4, 3, v18
	ds_read_b64 v[4:5], v7 offset:280
	ds_read_b64 v[20:21], v15
	ds_read2_b64 v[16:19], v7 offset0:7 offset1:14
	ds_read2_b64 v[24:27], v7 offset0:21 offset1:28
	s_mov_b32 s0, 0x3f5db3d7
	s_waitcnt lgkmcnt(0)
	v_mov_b32_e32 v28, v20
	v_mov_b32_e32 v29, v17
	;; [unrolled: 1-line block ×4, first 2 shown]
	; wave barrier
	s_waitcnt vmcnt(1)
	v_mul_f32_e32 v36, v1, v25
	v_mul_f32_e32 v37, v1, v24
	;; [unrolled: 1-line block ×4, first 2 shown]
	s_waitcnt vmcnt(0)
	v_pk_mul_f32 v[32:33], v[8:9], v[18:19] op_sel:[0,1]
	v_pk_mul_f32 v[34:35], v[10:11], v[26:27] op_sel:[0,1]
	v_fmac_f32_e32 v37, v0, v25
	v_fma_f32 v25, v2, v4, -v38
	v_fmac_f32_e32 v1, v2, v5
	v_pk_fma_f32 v[4:5], v[8:9], v[18:19], v[32:33] op_sel:[0,0,1] op_sel_hi:[1,1,0] neg_lo:[0,0,1] neg_hi:[0,0,1]
	v_pk_fma_f32 v[8:9], v[8:9], v[18:19], v[32:33] op_sel:[0,0,1] op_sel_hi:[1,0,0]
	v_pk_fma_f32 v[18:19], v[10:11], v[26:27], v[34:35] op_sel:[0,0,1] op_sel_hi:[1,1,0] neg_lo:[0,0,1] neg_hi:[0,0,1]
	v_pk_fma_f32 v[10:11], v[10:11], v[26:27], v[34:35] op_sel:[0,0,1] op_sel_hi:[1,0,0]
	v_mov_b32_e32 v5, v9
	v_fma_f32 v3, v0, v24, -v36
	v_mov_b32_e32 v19, v11
	v_mov_b32_e32 v2, v9
	;; [unrolled: 1-line block ×3, first 2 shown]
	v_pk_add_f32 v[10:11], v[20:21], v[4:5]
	v_add_f32_e32 v27, v16, v3
	v_add_f32_e32 v9, v17, v37
	v_pk_add_f32 v[20:21], v[2:3], v[24:25]
	v_mov_b32_e32 v5, v37
	v_pk_add_f32 v[16:17], v[10:11], v[18:19]
	v_mov_b32_e32 v19, v1
	v_pk_add_f32 v[2:3], v[2:3], v[24:25] neg_lo:[0,1] neg_hi:[0,1]
	v_pk_fma_f32 v[10:11], v[20:21], 0.5, v[30:31] op_sel_hi:[1,0,1] neg_lo:[1,0,0] neg_hi:[1,0,0]
	v_pk_add_f32 v[20:21], v[4:5], v[18:19] neg_lo:[0,1] neg_hi:[0,1]
	v_pk_add_f32 v[4:5], v[4:5], v[18:19]
	v_pk_mul_f32 v[32:33], v[2:3], s[0:1] op_sel_hi:[1,0]
	v_pk_fma_f32 v[28:29], v[4:5], 0.5, v[28:29] op_sel_hi:[1,0,1] neg_lo:[1,0,0] neg_hi:[1,0,0]
	v_pk_mul_f32 v[4:5], v[20:21], s[0:1] op_sel_hi:[1,0]
	v_mov_b32_e32 v8, v11
	v_mov_b32_e32 v26, v33
	;; [unrolled: 1-line block ×4, first 2 shown]
	v_pk_fma_f32 v[2:3], v[2:3], s[0:1], v[28:29] op_sel_hi:[1,0,1] neg_lo:[1,0,0] neg_hi:[1,0,0]
	v_mov_b32_e32 v24, v29
	v_mov_b32_e32 v29, v4
	v_pk_fma_f32 v[18:19], v[20:21], s[0:1], v[10:11] op_sel_hi:[1,0,1]
	v_pk_add_f32 v[4:5], v[8:9], v[0:1] neg_lo:[0,1] neg_hi:[0,1]
	v_pk_add_f32 v[8:9], v[8:9], v[0:1]
	v_pk_add_f32 v[20:21], v[32:33], v[28:29]
	v_pk_add_f32 v[0:1], v[32:33], v[28:29] neg_lo:[0,1] neg_hi:[0,1]
	v_mov_b32_e32 v31, v18
	v_pk_add_f32 v[10:11], v[26:27], v[24:25]
	v_mov_b32_e32 v30, v2
	v_mov_b32_e32 v21, v1
	ds_write_b64 v6, v[30:31] offset:32
	v_mov_b32_e32 v8, v11
	ds_write2_b64 v6, v[16:17], v[20:21] offset1:2
	v_mov_b32_e32 v24, v19
	v_mov_b32_e32 v25, v3
	;; [unrolled: 1-line block ×3, first 2 shown]
	v_cmp_gt_u16_e64 s[0:1], 6, v22
	v_mov_b32_e32 v6, v1
	ds_write2_b64 v23, v[8:9], v[24:25] offset1:2
	ds_write_b64 v23, v[4:5] offset:32
	s_waitcnt lgkmcnt(0)
	; wave barrier
	s_waitcnt lgkmcnt(0)
	s_and_saveexec_b64 s[2:3], s[0:1]
	s_cbranch_execnz .LBB0_7
; %bb.5:
	s_or_b64 exec, exec, s[2:3]
	s_and_b64 s[0:1], vcc, s[0:1]
	s_and_saveexec_b64 s[2:3], s[0:1]
	s_cbranch_execnz .LBB0_8
.LBB0_6:
	s_endpgm
.LBB0_7:
	ds_read2_b64 v[0:3], v7 offset0:6 offset1:12
	ds_read2_b64 v[8:11], v7 offset0:18 offset1:24
	;; [unrolled: 1-line block ×3, first 2 shown]
	ds_read_b64 v[16:17], v15
	s_waitcnt lgkmcnt(3)
	v_mov_b32_e32 v18, v3
	s_waitcnt lgkmcnt(2)
	v_mov_b32_e32 v19, v10
	v_mov_b32_e32 v3, v11
	s_waitcnt lgkmcnt(1)
	v_mov_b32_e32 v10, v5
	v_mov_b32_e32 v11, v8
	;; [unrolled: 1-line block ×3, first 2 shown]
	s_or_b64 exec, exec, s[2:3]
	s_and_b64 s[0:1], vcc, s[0:1]
	s_and_saveexec_b64 s[2:3], s[0:1]
	s_cbranch_execz .LBB0_6
.LBB0_8:
	v_mul_u32_u24_e32 v0, 6, v22
	v_lshlrev_b32_e32 v0, 3, v0
	global_load_dwordx4 v[22:25], v0, s[4:5] offset:32
	global_load_dwordx4 v[26:29], v0, s[4:5] offset:64
	global_load_dwordx4 v[30:33], v0, s[4:5] offset:48
	v_mov_b32_e32 v15, 0
	v_mov_b32_e32 v21, v6
	v_mov_b32_e32 v34, v1
	v_mov_b32_e32 v35, v7
	v_mov_b32_e32 v5, v9
	v_lshl_add_u64 v[12:13], v[12:13], 0, v[14:15]
	s_mov_b32 s2, 0xbf08b237
	s_mov_b32 s3, 0x3eae86e6
	;; [unrolled: 1-line block ×10, first 2 shown]
	s_waitcnt vmcnt(2)
	v_mul_f32_e32 v8, v1, v23
	s_waitcnt vmcnt(1)
	v_mul_f32_e32 v14, v7, v29
	v_mul_f32_e32 v40, v18, v25
	;; [unrolled: 1-line block ×3, first 2 shown]
	v_mov_b32_e32 v0, v23
	v_mov_b32_e32 v1, v29
	s_waitcnt vmcnt(0)
	v_mul_f32_e32 v7, v11, v31
	v_mul_f32_e32 v9, v9, v30
	v_mov_b32_e32 v38, v27
	v_mov_b32_e32 v39, v31
	;; [unrolled: 1-line block ×6, first 2 shown]
	v_mul_f32_e32 v15, v19, v33
	v_mul_f32_e32 v37, v3, v32
	v_mov_b32_e32 v25, v32
	v_fma_f32 v36, v20, v22, -v8
	v_fma_f32 v14, v6, v28, -v14
	;; [unrolled: 1-line block ×4, first 2 shown]
	v_pk_mul_f32 v[0:1], v[20:21], v[0:1]
	v_pk_mul_f32 v[4:5], v[4:5], v[38:39]
	;; [unrolled: 1-line block ×3, first 2 shown]
	v_sub_f32_e32 v21, v8, v6
	v_pk_fma_f32 v[0:1], v[34:35], v[22:23], v[0:1]
	v_pk_add_f32 v[22:23], v[36:37], v[14:15]
	v_pk_add_f32 v[6:7], v[8:9], v[6:7]
	v_pk_fma_f32 v[8:9], v[10:11], v[26:27], v[4:5]
	v_pk_fma_f32 v[4:5], v[10:11], v[26:27], v[4:5] neg_lo:[0,0,1] neg_hi:[0,0,1]
	v_pk_fma_f32 v[10:11], v[18:19], v[24:25], v[2:3]
	v_pk_fma_f32 v[2:3], v[18:19], v[24:25], v[2:3] neg_lo:[0,0,1] neg_hi:[0,0,1]
	v_mov_b32_e32 v15, v36
	v_mov_b32_e32 v19, v14
	v_mov_b32_e32 v20, v1
	v_mov_b32_e32 v9, v5
	v_mov_b32_e32 v11, v3
	v_mov_b32_e32 v14, v23
	v_mov_b32_e32 v18, v7
	v_pk_add_f32 v[26:27], v[0:1], v[20:21]
	v_pk_add_f32 v[28:29], v[10:11], v[8:9]
	v_pk_add_f32 v[8:9], v[10:11], v[8:9] neg_lo:[0,1] neg_hi:[0,1]
	v_pk_add_f32 v[10:11], v[14:15], v[18:19] neg_lo:[0,1] neg_hi:[0,1]
	v_mov_b32_e32 v2, v3
	v_mov_b32_e32 v4, v5
	v_pk_add_f32 v[0:1], v[0:1], v[20:21] neg_lo:[0,1] neg_hi:[0,1]
	v_pk_add_f32 v[14:15], v[8:9], v[20:21]
	v_pk_add_f32 v[30:31], v[10:11], v[8:9]
	v_mov_b32_e32 v3, v26
	v_mov_b32_e32 v5, v28
	v_pk_add_f32 v[24:25], v[22:23], v[6:7]
	v_mov_b32_e32 v1, v15
	v_mov_b32_e32 v31, v11
	;; [unrolled: 3-line block ×3, first 2 shown]
	v_mov_b32_e32 v20, v10
	v_pk_add_f32 v[4:5], v[30:31], v[0:1]
	v_mov_b32_e32 v1, v9
	v_pk_add_f32 v[24:25], v[24:25], v[2:3]
	v_mov_b32_e32 v3, v28
	v_pk_add_f32 v[18:19], v[10:11], v[8:9] neg_lo:[0,1] neg_hi:[0,1]
	v_pk_add_f32 v[30:31], v[0:1], v[20:21] neg_lo:[0,1] neg_hi:[0,1]
	;; [unrolled: 1-line block ×3, first 2 shown]
	v_mov_b32_e32 v3, v26
	v_pk_mul_f32 v[14:15], v[18:19], s[2:3]
	s_waitcnt lgkmcnt(0)
	v_pk_add_f32 v[16:17], v[16:17], v[24:25]
	v_pk_mul_f32 v[30:31], v[30:31], s[8:9]
	v_pk_mul_f32 v[32:33], v[32:33], s[4:5]
	v_pk_add_f32 v[2:3], v[2:3], v[6:7] neg_lo:[0,1] neg_hi:[0,1]
	v_mov_b32_e32 v9, v21
	v_mov_b32_e32 v1, v11
	v_pk_mul_f32 v[34:35], v[2:3], s[10:11]
	v_pk_fma_f32 v[2:3], v[2:3], s[10:11], v[32:33]
	v_pk_fma_f32 v[24:25], v[24:25], s[6:7], v[16:17] op_sel_hi:[1,0,1]
	v_pk_fma_f32 v[18:19], v[18:19], s[2:3], v[30:31]
	v_mov_b32_e32 v7, v28
	v_mov_b32_e32 v23, v26
	v_pk_add_f32 v[0:1], v[8:9], v[0:1] neg_lo:[0,1] neg_hi:[0,1]
	s_mov_b32 s4, 0x3f5ff5aa
	v_mov_b32_e32 v10, v30
	v_mov_b32_e32 v11, v15
	;; [unrolled: 1-line block ×3, first 2 shown]
	v_pk_add_f32 v[2:3], v[2:3], v[24:25]
	v_pk_fma_f32 v[18:19], v[4:5], s[0:1], v[18:19] op_sel_hi:[1,0,1]
	v_pk_add_f32 v[6:7], v[6:7], v[22:23] neg_lo:[0,1] neg_hi:[0,1]
	s_mov_b32 s2, 0x3f3bfb3b
	v_mov_b32_e32 v8, v32
	v_mov_b32_e32 v9, v35
	v_pk_fma_f32 v[10:11], v[0:1], s[4:5], v[10:11] op_sel_hi:[1,0,1] neg_lo:[1,0,1] neg_hi:[1,0,1]
	v_pk_fma_f32 v[0:1], v[0:1], s[4:5], v[14:15] op_sel_hi:[1,0,1] neg_lo:[0,0,1] neg_hi:[0,0,1]
	v_mov_b32_e32 v35, v33
	v_pk_add_f32 v[36:37], v[2:3], v[18:19]
	v_pk_add_f32 v[2:3], v[2:3], v[18:19] neg_lo:[0,1] neg_hi:[0,1]
	v_pk_fma_f32 v[8:9], v[6:7], s[2:3], v[8:9] op_sel_hi:[1,0,1] neg_lo:[1,0,1] neg_hi:[1,0,1]
	v_pk_fma_f32 v[10:11], v[4:5], s[0:1], v[10:11] op_sel_hi:[1,0,1]
	v_pk_fma_f32 v[0:1], v[4:5], s[0:1], v[0:1] op_sel_hi:[1,0,1]
	v_pk_fma_f32 v[4:5], v[6:7], s[2:3], v[34:35] op_sel_hi:[1,0,1] neg_lo:[0,0,1] neg_hi:[0,0,1]
	global_store_dwordx2 v[12:13], v[16:17], off
	v_mov_b32_e32 v16, v36
	v_mov_b32_e32 v17, v3
	v_pk_add_f32 v[8:9], v[8:9], v[24:25]
	v_pk_add_f32 v[4:5], v[4:5], v[24:25]
	global_store_dwordx2 v[12:13], v[16:17], off offset:48
	v_pk_add_f32 v[16:17], v[8:9], v[10:11]
	v_pk_add_f32 v[8:9], v[8:9], v[10:11] neg_lo:[0,1] neg_hi:[0,1]
	v_pk_add_f32 v[6:7], v[4:5], v[0:1] neg_lo:[0,1] neg_hi:[0,1]
	v_pk_add_f32 v[0:1], v[4:5], v[0:1]
	v_mov_b32_e32 v10, v16
	v_mov_b32_e32 v11, v9
	;; [unrolled: 1-line block ×7, first 2 shown]
	global_store_dwordx2 v[12:13], v[10:11], off offset:96
	global_store_dwordx2 v[12:13], v[4:5], off offset:144
	;; [unrolled: 1-line block ×5, first 2 shown]
	s_endpgm
	.section	.rodata,"a",@progbits
	.p2align	6, 0x0
	.amdhsa_kernel fft_rtc_fwd_len42_factors_2_3_7_wgs_63_tpt_7_dim2_sp_ip_CI_unitstride_sbrr_dirReg
		.amdhsa_group_segment_fixed_size 0
		.amdhsa_private_segment_fixed_size 0
		.amdhsa_kernarg_size 80
		.amdhsa_user_sgpr_count 2
		.amdhsa_user_sgpr_dispatch_ptr 0
		.amdhsa_user_sgpr_queue_ptr 0
		.amdhsa_user_sgpr_kernarg_segment_ptr 1
		.amdhsa_user_sgpr_dispatch_id 0
		.amdhsa_user_sgpr_kernarg_preload_length 0
		.amdhsa_user_sgpr_kernarg_preload_offset 0
		.amdhsa_user_sgpr_private_segment_size 0
		.amdhsa_uses_dynamic_stack 0
		.amdhsa_enable_private_segment 0
		.amdhsa_system_sgpr_workgroup_id_x 1
		.amdhsa_system_sgpr_workgroup_id_y 0
		.amdhsa_system_sgpr_workgroup_id_z 0
		.amdhsa_system_sgpr_workgroup_info 0
		.amdhsa_system_vgpr_workitem_id 0
		.amdhsa_next_free_vgpr 42
		.amdhsa_next_free_sgpr 16
		.amdhsa_accum_offset 44
		.amdhsa_reserve_vcc 1
		.amdhsa_float_round_mode_32 0
		.amdhsa_float_round_mode_16_64 0
		.amdhsa_float_denorm_mode_32 3
		.amdhsa_float_denorm_mode_16_64 3
		.amdhsa_dx10_clamp 1
		.amdhsa_ieee_mode 1
		.amdhsa_fp16_overflow 0
		.amdhsa_tg_split 0
		.amdhsa_exception_fp_ieee_invalid_op 0
		.amdhsa_exception_fp_denorm_src 0
		.amdhsa_exception_fp_ieee_div_zero 0
		.amdhsa_exception_fp_ieee_overflow 0
		.amdhsa_exception_fp_ieee_underflow 0
		.amdhsa_exception_fp_ieee_inexact 0
		.amdhsa_exception_int_div_zero 0
	.end_amdhsa_kernel
	.text
.Lfunc_end0:
	.size	fft_rtc_fwd_len42_factors_2_3_7_wgs_63_tpt_7_dim2_sp_ip_CI_unitstride_sbrr_dirReg, .Lfunc_end0-fft_rtc_fwd_len42_factors_2_3_7_wgs_63_tpt_7_dim2_sp_ip_CI_unitstride_sbrr_dirReg
                                        ; -- End function
	.section	.AMDGPU.csdata,"",@progbits
; Kernel info:
; codeLenInByte = 2100
; NumSgprs: 22
; NumVgprs: 42
; NumAgprs: 0
; TotalNumVgprs: 42
; ScratchSize: 0
; MemoryBound: 0
; FloatMode: 240
; IeeeMode: 1
; LDSByteSize: 0 bytes/workgroup (compile time only)
; SGPRBlocks: 2
; VGPRBlocks: 5
; NumSGPRsForWavesPerEU: 22
; NumVGPRsForWavesPerEU: 42
; AccumOffset: 44
; Occupancy: 8
; WaveLimiterHint : 1
; COMPUTE_PGM_RSRC2:SCRATCH_EN: 0
; COMPUTE_PGM_RSRC2:USER_SGPR: 2
; COMPUTE_PGM_RSRC2:TRAP_HANDLER: 0
; COMPUTE_PGM_RSRC2:TGID_X_EN: 1
; COMPUTE_PGM_RSRC2:TGID_Y_EN: 0
; COMPUTE_PGM_RSRC2:TGID_Z_EN: 0
; COMPUTE_PGM_RSRC2:TIDIG_COMP_CNT: 0
; COMPUTE_PGM_RSRC3_GFX90A:ACCUM_OFFSET: 10
; COMPUTE_PGM_RSRC3_GFX90A:TG_SPLIT: 0
	.text
	.p2alignl 6, 3212836864
	.fill 256, 4, 3212836864
	.type	__hip_cuid_874e25f16cf1eb8c,@object ; @__hip_cuid_874e25f16cf1eb8c
	.section	.bss,"aw",@nobits
	.globl	__hip_cuid_874e25f16cf1eb8c
__hip_cuid_874e25f16cf1eb8c:
	.byte	0                               ; 0x0
	.size	__hip_cuid_874e25f16cf1eb8c, 1

	.ident	"AMD clang version 19.0.0git (https://github.com/RadeonOpenCompute/llvm-project roc-6.4.0 25133 c7fe45cf4b819c5991fe208aaa96edf142730f1d)"
	.section	".note.GNU-stack","",@progbits
	.addrsig
	.addrsig_sym __hip_cuid_874e25f16cf1eb8c
	.amdgpu_metadata
---
amdhsa.kernels:
  - .agpr_count:     0
    .args:
      - .actual_access:  read_only
        .address_space:  global
        .offset:         0
        .size:           8
        .value_kind:     global_buffer
      - .actual_access:  read_only
        .address_space:  global
        .offset:         8
        .size:           8
        .value_kind:     global_buffer
      - .actual_access:  read_only
        .address_space:  global
        .offset:         16
        .size:           8
        .value_kind:     global_buffer
      - .offset:         24
        .size:           8
        .value_kind:     by_value
      - .actual_access:  read_only
        .address_space:  global
        .offset:         32
        .size:           8
        .value_kind:     global_buffer
      - .actual_access:  read_only
        .address_space:  global
        .offset:         40
        .size:           8
        .value_kind:     global_buffer
      - .offset:         48
        .size:           4
        .value_kind:     by_value
      - .actual_access:  read_only
        .address_space:  global
        .offset:         56
        .size:           8
        .value_kind:     global_buffer
      - .actual_access:  read_only
        .address_space:  global
        .offset:         64
        .size:           8
        .value_kind:     global_buffer
      - .address_space:  global
        .offset:         72
        .size:           8
        .value_kind:     global_buffer
    .group_segment_fixed_size: 0
    .kernarg_segment_align: 8
    .kernarg_segment_size: 80
    .language:       OpenCL C
    .language_version:
      - 2
      - 0
    .max_flat_workgroup_size: 63
    .name:           fft_rtc_fwd_len42_factors_2_3_7_wgs_63_tpt_7_dim2_sp_ip_CI_unitstride_sbrr_dirReg
    .private_segment_fixed_size: 0
    .sgpr_count:     22
    .sgpr_spill_count: 0
    .symbol:         fft_rtc_fwd_len42_factors_2_3_7_wgs_63_tpt_7_dim2_sp_ip_CI_unitstride_sbrr_dirReg.kd
    .uniform_work_group_size: 1
    .uses_dynamic_stack: false
    .vgpr_count:     42
    .vgpr_spill_count: 0
    .wavefront_size: 64
amdhsa.target:   amdgcn-amd-amdhsa--gfx950
amdhsa.version:
  - 1
  - 2
...

	.end_amdgpu_metadata
